;; amdgpu-corpus repo=ROCm/rocFFT kind=compiled arch=gfx906 opt=O3
	.text
	.amdgcn_target "amdgcn-amd-amdhsa--gfx906"
	.amdhsa_code_object_version 6
	.protected	fft_rtc_back_len416_factors_13_2_16_wgs_64_tpt_32_dp_op_CI_CI_unitstride_sbrr_C2R_dirReg ; -- Begin function fft_rtc_back_len416_factors_13_2_16_wgs_64_tpt_32_dp_op_CI_CI_unitstride_sbrr_C2R_dirReg
	.globl	fft_rtc_back_len416_factors_13_2_16_wgs_64_tpt_32_dp_op_CI_CI_unitstride_sbrr_C2R_dirReg
	.p2align	8
	.type	fft_rtc_back_len416_factors_13_2_16_wgs_64_tpt_32_dp_op_CI_CI_unitstride_sbrr_C2R_dirReg,@function
fft_rtc_back_len416_factors_13_2_16_wgs_64_tpt_32_dp_op_CI_CI_unitstride_sbrr_C2R_dirReg: ; @fft_rtc_back_len416_factors_13_2_16_wgs_64_tpt_32_dp_op_CI_CI_unitstride_sbrr_C2R_dirReg
; %bb.0:
	s_load_dwordx4 s[8:11], s[4:5], 0x58
	s_load_dwordx4 s[12:15], s[4:5], 0x0
	;; [unrolled: 1-line block ×3, first 2 shown]
	v_lshrrev_b32_e32 v1, 5, v0
	v_lshl_or_b32 v5, s6, 1, v1
	v_mov_b32_e32 v3, 0
	s_waitcnt lgkmcnt(0)
	v_cmp_lt_u64_e64 s[0:1], s[14:15], 2
	v_mov_b32_e32 v1, 0
	v_mov_b32_e32 v6, v3
	s_and_b64 vcc, exec, s[0:1]
	v_mov_b32_e32 v2, 0
	s_cbranch_vccnz .LBB0_8
; %bb.1:
	s_load_dwordx2 s[0:1], s[4:5], 0x10
	s_add_u32 s2, s18, 8
	s_addc_u32 s3, s19, 0
	s_add_u32 s6, s16, 8
	v_mov_b32_e32 v1, 0
	s_addc_u32 s7, s17, 0
	v_mov_b32_e32 v2, 0
	s_waitcnt lgkmcnt(0)
	s_add_u32 s20, s0, 8
	v_mov_b32_e32 v65, v2
	s_addc_u32 s21, s1, 0
	s_mov_b64 s[22:23], 1
	v_mov_b32_e32 v64, v1
.LBB0_2:                                ; =>This Inner Loop Header: Depth=1
	s_load_dwordx2 s[24:25], s[20:21], 0x0
                                        ; implicit-def: $vgpr68_vgpr69
	s_waitcnt lgkmcnt(0)
	v_or_b32_e32 v4, s25, v6
	v_cmp_ne_u64_e32 vcc, 0, v[3:4]
	s_and_saveexec_b64 s[0:1], vcc
	s_xor_b64 s[26:27], exec, s[0:1]
	s_cbranch_execz .LBB0_4
; %bb.3:                                ;   in Loop: Header=BB0_2 Depth=1
	v_cvt_f32_u32_e32 v4, s24
	v_cvt_f32_u32_e32 v7, s25
	s_sub_u32 s0, 0, s24
	s_subb_u32 s1, 0, s25
	v_mac_f32_e32 v4, 0x4f800000, v7
	v_rcp_f32_e32 v4, v4
	v_mul_f32_e32 v4, 0x5f7ffffc, v4
	v_mul_f32_e32 v7, 0x2f800000, v4
	v_trunc_f32_e32 v7, v7
	v_mac_f32_e32 v4, 0xcf800000, v7
	v_cvt_u32_f32_e32 v7, v7
	v_cvt_u32_f32_e32 v4, v4
	v_mul_lo_u32 v8, s0, v7
	v_mul_hi_u32 v9, s0, v4
	v_mul_lo_u32 v11, s1, v4
	v_mul_lo_u32 v10, s0, v4
	v_add_u32_e32 v8, v9, v8
	v_add_u32_e32 v8, v8, v11
	v_mul_hi_u32 v9, v4, v10
	v_mul_lo_u32 v11, v4, v8
	v_mul_hi_u32 v13, v4, v8
	v_mul_hi_u32 v12, v7, v10
	v_mul_lo_u32 v10, v7, v10
	v_mul_hi_u32 v14, v7, v8
	v_add_co_u32_e32 v9, vcc, v9, v11
	v_addc_co_u32_e32 v11, vcc, 0, v13, vcc
	v_mul_lo_u32 v8, v7, v8
	v_add_co_u32_e32 v9, vcc, v9, v10
	v_addc_co_u32_e32 v9, vcc, v11, v12, vcc
	v_addc_co_u32_e32 v10, vcc, 0, v14, vcc
	v_add_co_u32_e32 v8, vcc, v9, v8
	v_addc_co_u32_e32 v9, vcc, 0, v10, vcc
	v_add_co_u32_e32 v4, vcc, v4, v8
	v_addc_co_u32_e32 v7, vcc, v7, v9, vcc
	v_mul_lo_u32 v8, s0, v7
	v_mul_hi_u32 v9, s0, v4
	v_mul_lo_u32 v10, s1, v4
	v_mul_lo_u32 v11, s0, v4
	v_add_u32_e32 v8, v9, v8
	v_add_u32_e32 v8, v8, v10
	v_mul_lo_u32 v12, v4, v8
	v_mul_hi_u32 v13, v4, v11
	v_mul_hi_u32 v14, v4, v8
	v_mul_hi_u32 v10, v7, v11
	v_mul_lo_u32 v11, v7, v11
	v_mul_hi_u32 v9, v7, v8
	v_add_co_u32_e32 v12, vcc, v13, v12
	v_addc_co_u32_e32 v13, vcc, 0, v14, vcc
	v_mul_lo_u32 v8, v7, v8
	v_add_co_u32_e32 v11, vcc, v12, v11
	v_addc_co_u32_e32 v10, vcc, v13, v10, vcc
	v_addc_co_u32_e32 v9, vcc, 0, v9, vcc
	v_add_co_u32_e32 v8, vcc, v10, v8
	v_addc_co_u32_e32 v9, vcc, 0, v9, vcc
	v_add_co_u32_e32 v4, vcc, v4, v8
	v_addc_co_u32_e32 v9, vcc, v7, v9, vcc
	v_mad_u64_u32 v[7:8], s[0:1], v5, v9, 0
	v_mul_hi_u32 v10, v5, v4
	v_add_co_u32_e32 v11, vcc, v10, v7
	v_addc_co_u32_e32 v12, vcc, 0, v8, vcc
	v_mad_u64_u32 v[7:8], s[0:1], v6, v4, 0
	v_mad_u64_u32 v[9:10], s[0:1], v6, v9, 0
	v_add_co_u32_e32 v4, vcc, v11, v7
	v_addc_co_u32_e32 v4, vcc, v12, v8, vcc
	v_addc_co_u32_e32 v7, vcc, 0, v10, vcc
	v_add_co_u32_e32 v4, vcc, v4, v9
	v_addc_co_u32_e32 v9, vcc, 0, v7, vcc
	v_mul_lo_u32 v10, s25, v4
	v_mul_lo_u32 v11, s24, v9
	v_mad_u64_u32 v[7:8], s[0:1], s24, v4, 0
	v_add3_u32 v8, v8, v11, v10
	v_sub_u32_e32 v10, v6, v8
	v_mov_b32_e32 v11, s25
	v_sub_co_u32_e32 v7, vcc, v5, v7
	v_subb_co_u32_e64 v10, s[0:1], v10, v11, vcc
	v_subrev_co_u32_e64 v11, s[0:1], s24, v7
	v_subbrev_co_u32_e64 v10, s[0:1], 0, v10, s[0:1]
	v_cmp_le_u32_e64 s[0:1], s25, v10
	v_cndmask_b32_e64 v12, 0, -1, s[0:1]
	v_cmp_le_u32_e64 s[0:1], s24, v11
	v_cndmask_b32_e64 v11, 0, -1, s[0:1]
	v_cmp_eq_u32_e64 s[0:1], s25, v10
	v_cndmask_b32_e64 v10, v12, v11, s[0:1]
	v_add_co_u32_e64 v11, s[0:1], 2, v4
	v_addc_co_u32_e64 v12, s[0:1], 0, v9, s[0:1]
	v_add_co_u32_e64 v13, s[0:1], 1, v4
	v_addc_co_u32_e64 v14, s[0:1], 0, v9, s[0:1]
	v_subb_co_u32_e32 v8, vcc, v6, v8, vcc
	v_cmp_ne_u32_e64 s[0:1], 0, v10
	v_cmp_le_u32_e32 vcc, s25, v8
	v_cndmask_b32_e64 v10, v14, v12, s[0:1]
	v_cndmask_b32_e64 v12, 0, -1, vcc
	v_cmp_le_u32_e32 vcc, s24, v7
	v_cndmask_b32_e64 v7, 0, -1, vcc
	v_cmp_eq_u32_e32 vcc, s25, v8
	v_cndmask_b32_e32 v7, v12, v7, vcc
	v_cmp_ne_u32_e32 vcc, 0, v7
	v_cndmask_b32_e64 v7, v13, v11, s[0:1]
	v_cndmask_b32_e32 v69, v9, v10, vcc
	v_cndmask_b32_e32 v68, v4, v7, vcc
.LBB0_4:                                ;   in Loop: Header=BB0_2 Depth=1
	s_andn2_saveexec_b64 s[0:1], s[26:27]
	s_cbranch_execz .LBB0_6
; %bb.5:                                ;   in Loop: Header=BB0_2 Depth=1
	v_cvt_f32_u32_e32 v4, s24
	s_sub_i32 s26, 0, s24
	v_mov_b32_e32 v69, v3
	v_rcp_iflag_f32_e32 v4, v4
	v_mul_f32_e32 v4, 0x4f7ffffe, v4
	v_cvt_u32_f32_e32 v4, v4
	v_mul_lo_u32 v7, s26, v4
	v_mul_hi_u32 v7, v4, v7
	v_add_u32_e32 v4, v4, v7
	v_mul_hi_u32 v4, v5, v4
	v_mul_lo_u32 v7, v4, s24
	v_add_u32_e32 v8, 1, v4
	v_sub_u32_e32 v7, v5, v7
	v_subrev_u32_e32 v9, s24, v7
	v_cmp_le_u32_e32 vcc, s24, v7
	v_cndmask_b32_e32 v7, v7, v9, vcc
	v_cndmask_b32_e32 v4, v4, v8, vcc
	v_add_u32_e32 v8, 1, v4
	v_cmp_le_u32_e32 vcc, s24, v7
	v_cndmask_b32_e32 v68, v4, v8, vcc
.LBB0_6:                                ;   in Loop: Header=BB0_2 Depth=1
	s_or_b64 exec, exec, s[0:1]
	v_mul_lo_u32 v4, v69, s24
	v_mul_lo_u32 v9, v68, s25
	v_mad_u64_u32 v[7:8], s[0:1], v68, s24, 0
	s_load_dwordx2 s[0:1], s[6:7], 0x0
	s_load_dwordx2 s[24:25], s[2:3], 0x0
	v_add3_u32 v4, v8, v9, v4
	v_sub_co_u32_e32 v5, vcc, v5, v7
	v_subb_co_u32_e32 v4, vcc, v6, v4, vcc
	s_waitcnt lgkmcnt(0)
	v_mul_lo_u32 v6, s0, v4
	v_mul_lo_u32 v7, s1, v5
	v_mad_u64_u32 v[1:2], s[0:1], s0, v5, v[1:2]
	v_mul_lo_u32 v4, s24, v4
	v_mul_lo_u32 v8, s25, v5
	v_mad_u64_u32 v[64:65], s[0:1], s24, v5, v[64:65]
	s_add_u32 s22, s22, 1
	s_addc_u32 s23, s23, 0
	s_add_u32 s2, s2, 8
	v_add3_u32 v65, v8, v65, v4
	s_addc_u32 s3, s3, 0
	v_mov_b32_e32 v4, s14
	s_add_u32 s6, s6, 8
	v_mov_b32_e32 v5, s15
	s_addc_u32 s7, s7, 0
	v_cmp_ge_u64_e32 vcc, s[22:23], v[4:5]
	s_add_u32 s20, s20, 8
	v_add3_u32 v2, v7, v2, v6
	s_addc_u32 s21, s21, 0
	s_cbranch_vccnz .LBB0_9
; %bb.7:                                ;   in Loop: Header=BB0_2 Depth=1
	v_mov_b32_e32 v5, v68
	v_mov_b32_e32 v6, v69
	s_branch .LBB0_2
.LBB0_8:
	v_mov_b32_e32 v65, v2
	v_mov_b32_e32 v69, v6
	;; [unrolled: 1-line block ×4, first 2 shown]
.LBB0_9:
	s_load_dwordx2 s[2:3], s[4:5], 0x28
	s_lshl_b64 s[6:7], s[14:15], 3
	s_add_u32 s14, s18, s6
	v_and_b32_e32 v3, 32, v0
	s_addc_u32 s15, s19, s7
	s_waitcnt lgkmcnt(0)
	v_cmp_gt_u64_e64 s[0:1], s[2:3], v[68:69]
	v_cmp_le_u64_e64 s[2:3], s[2:3], v[68:69]
	v_cmp_ne_u32_e32 vcc, 0, v3
	v_mov_b32_e32 v3, 0x1a1
	v_and_b32_e32 v66, 31, v0
	s_and_saveexec_b64 s[4:5], s[2:3]
	s_xor_b64 s[2:3], exec, s[4:5]
; %bb.10:
	v_and_b32_e32 v66, 31, v0
                                        ; implicit-def: $vgpr1_vgpr2
; %bb.11:
	s_or_saveexec_b64 s[4:5], s[2:3]
	s_load_dwordx2 s[2:3], s[14:15], 0x0
	v_cndmask_b32_e32 v0, 0, v3, vcc
	v_lshlrev_b32_e32 v60, 4, v0
	s_xor_b64 exec, exec, s[4:5]
	s_cbranch_execz .LBB0_15
; %bb.12:
	s_add_u32 s6, s16, s6
	s_addc_u32 s7, s17, s7
	s_load_dwordx2 s[6:7], s[6:7], 0x0
	v_lshlrev_b64 v[5:6], 4, v[1:2]
	v_mov_b32_e32 v9, s9
	s_waitcnt lgkmcnt(0)
	v_mul_lo_u32 v7, s7, v68
	v_mul_lo_u32 v8, s6, v69
	v_mad_u64_u32 v[3:4], s[6:7], s6, v68, 0
	v_add3_u32 v4, v4, v8, v7
	v_lshlrev_b64 v[1:2], 4, v[3:4]
	v_add_co_u32_e32 v1, vcc, s8, v1
	v_addc_co_u32_e32 v3, vcc, v9, v2, vcc
	v_add_co_u32_e32 v2, vcc, v1, v5
	v_addc_co_u32_e32 v1, vcc, v3, v6, vcc
	v_lshlrev_b32_e32 v3, 4, v66
	v_add_co_u32_e32 v36, vcc, v2, v3
	v_addc_co_u32_e32 v37, vcc, 0, v1, vcc
	global_load_dwordx4 v[4:7], v[36:37], off
	global_load_dwordx4 v[8:11], v[36:37], off offset:512
	global_load_dwordx4 v[12:15], v[36:37], off offset:1024
	;; [unrolled: 1-line block ×7, first 2 shown]
	v_or_b32_e32 v36, 0x1000, v3
	v_add_co_u32_e32 v44, vcc, v2, v36
	v_addc_co_u32_e32 v45, vcc, 0, v1, vcc
	v_or_b32_e32 v36, 0x1200, v3
	v_add_co_u32_e32 v46, vcc, v2, v36
	v_addc_co_u32_e32 v47, vcc, 0, v1, vcc
	global_load_dwordx4 v[36:39], v[44:45], off
	global_load_dwordx4 v[40:43], v[46:47], off
	v_or_b32_e32 v44, 0x1400, v3
	v_add_co_u32_e32 v56, vcc, v2, v44
	v_or_b32_e32 v45, 0x1600, v3
	v_addc_co_u32_e32 v57, vcc, 0, v1, vcc
	v_add_co_u32_e32 v58, vcc, v2, v45
	v_or_b32_e32 v46, 0x1800, v3
	v_addc_co_u32_e32 v59, vcc, 0, v1, vcc
	v_add_co_u32_e32 v61, vcc, v2, v46
	v_addc_co_u32_e32 v62, vcc, 0, v1, vcc
	global_load_dwordx4 v[44:47], v[56:57], off
	global_load_dwordx4 v[48:51], v[58:59], off
	;; [unrolled: 1-line block ×3, first 2 shown]
	v_add3_u32 v3, 0, v60, v3
	v_cmp_eq_u32_e32 vcc, 31, v66
	s_waitcnt vmcnt(12)
	ds_write_b128 v3, v[4:7]
	s_waitcnt vmcnt(11)
	ds_write_b128 v3, v[8:11] offset:512
	s_waitcnt vmcnt(10)
	ds_write_b128 v3, v[12:15] offset:1024
	;; [unrolled: 2-line block ×12, first 2 shown]
	s_and_saveexec_b64 s[6:7], vcc
	s_cbranch_execz .LBB0_14
; %bb.13:
	v_add_co_u32_e32 v4, vcc, 0x1000, v2
	v_addc_co_u32_e32 v5, vcc, 0, v1, vcc
	global_load_dwordx4 v[4:7], v[4:5], off offset:2560
	v_mov_b32_e32 v66, 31
	s_waitcnt vmcnt(0)
	ds_write_b128 v3, v[4:7] offset:6160
.LBB0_14:
	s_or_b64 exec, exec, s[6:7]
.LBB0_15:
	s_or_b64 exec, exec, s[4:5]
	v_lshl_add_u32 v70, v0, 4, 0
	v_lshlrev_b32_e32 v10, 4, v66
	v_add_u32_e32 v71, v70, v10
	s_waitcnt lgkmcnt(0)
	; wave barrier
	s_waitcnt lgkmcnt(0)
	v_sub_u32_e32 v11, v70, v10
	ds_read_b64 v[6:7], v71
	ds_read_b64 v[8:9], v11 offset:6656
	s_add_u32 s6, s12, 0x1930
	s_addc_u32 s7, s13, 0
	v_cmp_ne_u32_e32 vcc, 0, v66
                                        ; implicit-def: $vgpr4_vgpr5
	s_waitcnt lgkmcnt(0)
	v_add_f64 v[0:1], v[6:7], v[8:9]
	v_add_f64 v[2:3], v[6:7], -v[8:9]
	s_and_saveexec_b64 s[4:5], vcc
	s_xor_b64 s[4:5], exec, s[4:5]
	s_cbranch_execz .LBB0_17
; %bb.16:
	v_mov_b32_e32 v67, 0
	v_lshlrev_b64 v[0:1], 4, v[66:67]
	v_mov_b32_e32 v2, s7
	v_add_co_u32_e32 v0, vcc, s6, v0
	v_addc_co_u32_e32 v1, vcc, v2, v1, vcc
	global_load_dwordx4 v[2:5], v[0:1], off
	ds_read_b64 v[0:1], v11 offset:6664
	ds_read_b64 v[12:13], v71 offset:8
	v_add_f64 v[14:15], v[6:7], v[8:9]
	v_add_f64 v[8:9], v[6:7], -v[8:9]
	s_waitcnt lgkmcnt(0)
	v_add_f64 v[16:17], v[0:1], v[12:13]
	v_add_f64 v[0:1], v[12:13], -v[0:1]
	s_waitcnt vmcnt(0)
	v_fma_f64 v[6:7], -v[8:9], v[4:5], v[14:15]
	v_fma_f64 v[12:13], v[16:17], v[4:5], -v[0:1]
	v_fma_f64 v[14:15], v[8:9], v[4:5], v[14:15]
	v_fma_f64 v[18:19], v[16:17], v[4:5], v[0:1]
	;; [unrolled: 1-line block ×4, first 2 shown]
	v_fma_f64 v[0:1], -v[16:17], v[2:3], v[14:15]
	v_fma_f64 v[2:3], v[8:9], v[2:3], v[18:19]
	ds_write_b128 v11, v[4:7] offset:6656
	v_mov_b32_e32 v4, v66
	v_mov_b32_e32 v5, v67
.LBB0_17:
	s_andn2_saveexec_b64 s[4:5], s[4:5]
	s_cbranch_execz .LBB0_19
; %bb.18:
	ds_read_b128 v[4:7], v70 offset:3328
	s_waitcnt lgkmcnt(0)
	v_add_f64 v[12:13], v[4:5], v[4:5]
	v_mul_f64 v[14:15], v[6:7], -2.0
	v_mov_b32_e32 v4, 0
	v_mov_b32_e32 v5, 0
	ds_write_b128 v70, v[12:15] offset:3328
.LBB0_19:
	s_or_b64 exec, exec, s[4:5]
	v_lshlrev_b64 v[4:5], 4, v[4:5]
	v_mov_b32_e32 v6, s7
	v_add_co_u32_e32 v4, vcc, s6, v4
	v_addc_co_u32_e32 v5, vcc, v6, v5, vcc
	global_load_dwordx4 v[6:9], v[4:5], off offset:512
	global_load_dwordx4 v[12:15], v[4:5], off offset:1024
	ds_write_b128 v71, v[0:3]
	ds_read_b128 v[0:3], v71 offset:512
	ds_read_b128 v[16:19], v11 offset:6144
	global_load_dwordx4 v[20:23], v[4:5], off offset:1536
	v_or_b32_e32 v61, 0xc0, v66
	s_movk_i32 s4, 0xd0
	s_movk_i32 s33, 0xc0
	s_waitcnt lgkmcnt(0)
	v_add_f64 v[24:25], v[0:1], v[16:17]
	v_add_f64 v[26:27], v[18:19], v[2:3]
	v_add_f64 v[28:29], v[0:1], -v[16:17]
	v_add_f64 v[0:1], v[2:3], -v[18:19]
	v_cmp_gt_u32_e32 vcc, s4, v61
	s_waitcnt vmcnt(2)
	v_fma_f64 v[2:3], v[28:29], v[8:9], v[24:25]
	v_fma_f64 v[16:17], v[26:27], v[8:9], v[0:1]
	v_fma_f64 v[18:19], -v[28:29], v[8:9], v[24:25]
	v_fma_f64 v[8:9], v[26:27], v[8:9], -v[0:1]
	v_fma_f64 v[0:1], -v[26:27], v[6:7], v[2:3]
	v_fma_f64 v[2:3], v[28:29], v[6:7], v[16:17]
	v_fma_f64 v[16:17], v[26:27], v[6:7], v[18:19]
	;; [unrolled: 1-line block ×3, first 2 shown]
	ds_write_b128 v71, v[0:3] offset:512
	ds_write_b128 v11, v[16:19] offset:6144
	ds_read_b128 v[0:3], v71 offset:1024
	ds_read_b128 v[6:9], v11 offset:5632
	global_load_dwordx4 v[16:19], v[4:5], off offset:2048
	s_waitcnt lgkmcnt(0)
	v_add_f64 v[24:25], v[0:1], v[6:7]
	v_add_f64 v[26:27], v[8:9], v[2:3]
	v_add_f64 v[28:29], v[0:1], -v[6:7]
	v_add_f64 v[0:1], v[2:3], -v[8:9]
	s_waitcnt vmcnt(2)
	v_fma_f64 v[2:3], v[28:29], v[14:15], v[24:25]
	v_fma_f64 v[6:7], v[26:27], v[14:15], v[0:1]
	v_fma_f64 v[8:9], -v[28:29], v[14:15], v[24:25]
	v_fma_f64 v[14:15], v[26:27], v[14:15], -v[0:1]
	v_fma_f64 v[0:1], -v[26:27], v[12:13], v[2:3]
	v_fma_f64 v[2:3], v[28:29], v[12:13], v[6:7]
	v_fma_f64 v[6:7], v[26:27], v[12:13], v[8:9]
	;; [unrolled: 1-line block ×3, first 2 shown]
	ds_write_b128 v71, v[0:3] offset:1024
	ds_write_b128 v11, v[6:9] offset:5632
	ds_read_b128 v[0:3], v71 offset:1536
	ds_read_b128 v[6:9], v11 offset:5120
	global_load_dwordx4 v[12:15], v[4:5], off offset:2560
	s_waitcnt lgkmcnt(0)
	v_add_f64 v[24:25], v[0:1], v[6:7]
	v_add_f64 v[26:27], v[8:9], v[2:3]
	v_add_f64 v[28:29], v[0:1], -v[6:7]
	v_add_f64 v[0:1], v[2:3], -v[8:9]
	s_waitcnt vmcnt(2)
	v_fma_f64 v[2:3], v[28:29], v[22:23], v[24:25]
	v_fma_f64 v[6:7], v[26:27], v[22:23], v[0:1]
	v_fma_f64 v[8:9], -v[28:29], v[22:23], v[24:25]
	v_fma_f64 v[22:23], v[26:27], v[22:23], -v[0:1]
	v_fma_f64 v[0:1], -v[26:27], v[20:21], v[2:3]
	v_fma_f64 v[2:3], v[28:29], v[20:21], v[6:7]
	v_fma_f64 v[6:7], v[26:27], v[20:21], v[8:9]
	;; [unrolled: 1-line block ×3, first 2 shown]
	ds_write_b128 v71, v[0:3] offset:1536
	ds_write_b128 v11, v[6:9] offset:5120
	ds_read_b128 v[0:3], v71 offset:2048
	ds_read_b128 v[6:9], v11 offset:4608
	s_waitcnt lgkmcnt(0)
	v_add_f64 v[20:21], v[0:1], v[6:7]
	v_add_f64 v[22:23], v[8:9], v[2:3]
	v_add_f64 v[24:25], v[0:1], -v[6:7]
	v_add_f64 v[0:1], v[2:3], -v[8:9]
	s_waitcnt vmcnt(1)
	v_fma_f64 v[2:3], v[24:25], v[18:19], v[20:21]
	v_fma_f64 v[6:7], v[22:23], v[18:19], v[0:1]
	v_fma_f64 v[8:9], -v[24:25], v[18:19], v[20:21]
	v_fma_f64 v[18:19], v[22:23], v[18:19], -v[0:1]
	v_fma_f64 v[0:1], -v[22:23], v[16:17], v[2:3]
	v_fma_f64 v[2:3], v[24:25], v[16:17], v[6:7]
	v_fma_f64 v[6:7], v[22:23], v[16:17], v[8:9]
	;; [unrolled: 1-line block ×3, first 2 shown]
	ds_write_b128 v71, v[0:3] offset:2048
	ds_write_b128 v11, v[6:9] offset:4608
	ds_read_b128 v[0:3], v71 offset:2560
	ds_read_b128 v[6:9], v11 offset:4096
	s_waitcnt lgkmcnt(0)
	v_add_f64 v[16:17], v[0:1], v[6:7]
	v_add_f64 v[18:19], v[8:9], v[2:3]
	v_add_f64 v[20:21], v[0:1], -v[6:7]
	v_add_f64 v[0:1], v[2:3], -v[8:9]
	s_waitcnt vmcnt(0)
	v_fma_f64 v[2:3], v[20:21], v[14:15], v[16:17]
	v_fma_f64 v[6:7], v[18:19], v[14:15], v[0:1]
	v_fma_f64 v[8:9], -v[20:21], v[14:15], v[16:17]
	v_fma_f64 v[14:15], v[18:19], v[14:15], -v[0:1]
	v_fma_f64 v[0:1], -v[18:19], v[12:13], v[2:3]
	v_fma_f64 v[2:3], v[20:21], v[12:13], v[6:7]
	v_fma_f64 v[6:7], v[18:19], v[12:13], v[8:9]
	v_fma_f64 v[8:9], v[20:21], v[12:13], v[14:15]
	ds_write_b128 v71, v[0:3] offset:2560
	ds_write_b128 v11, v[6:9] offset:4096
	s_and_saveexec_b64 s[4:5], vcc
	s_cbranch_execz .LBB0_21
; %bb.20:
	global_load_dwordx4 v[0:3], v[4:5], off offset:3072
	ds_read_b128 v[4:7], v71 offset:3072
	ds_read_b128 v[12:15], v11 offset:3584
	s_waitcnt lgkmcnt(0)
	v_add_f64 v[8:9], v[4:5], v[12:13]
	v_add_f64 v[16:17], v[14:15], v[6:7]
	v_add_f64 v[12:13], v[4:5], -v[12:13]
	v_add_f64 v[4:5], v[6:7], -v[14:15]
	s_waitcnt vmcnt(0)
	v_fma_f64 v[6:7], v[12:13], v[2:3], v[8:9]
	v_fma_f64 v[14:15], v[16:17], v[2:3], v[4:5]
	v_fma_f64 v[8:9], -v[12:13], v[2:3], v[8:9]
	v_fma_f64 v[18:19], v[16:17], v[2:3], -v[4:5]
	v_fma_f64 v[2:3], -v[16:17], v[0:1], v[6:7]
	v_fma_f64 v[4:5], v[12:13], v[0:1], v[14:15]
	v_fma_f64 v[6:7], v[16:17], v[0:1], v[8:9]
	;; [unrolled: 1-line block ×3, first 2 shown]
	ds_write_b128 v71, v[2:5] offset:3072
	ds_write_b128 v11, v[6:9] offset:3584
.LBB0_21:
	s_or_b64 exec, exec, s[4:5]
	s_waitcnt lgkmcnt(0)
	; wave barrier
	s_waitcnt lgkmcnt(0)
	s_waitcnt lgkmcnt(0)
	; wave barrier
	s_waitcnt lgkmcnt(0)
	v_add3_u32 v67, 0, v10, v60
	ds_read_b128 v[0:3], v71
	ds_read_b128 v[4:7], v67 offset:512
	ds_read_b128 v[8:11], v67 offset:1024
	;; [unrolled: 1-line block ×5, first 2 shown]
	s_waitcnt lgkmcnt(4)
	v_add_f64 v[12:13], v[0:1], v[4:5]
	v_add_f64 v[14:15], v[2:3], v[6:7]
	ds_read_b128 v[18:21], v67 offset:3072
	ds_read_b128 v[22:25], v67 offset:3584
	;; [unrolled: 1-line block ×7, first 2 shown]
	s_mov_b32 s18, 0x42a4c3d2
	s_mov_b32 s19, 0xbfea55e2
	s_waitcnt lgkmcnt(5)
	v_add_f64 v[16:17], v[20:21], v[24:25]
	v_add_f64 v[12:13], v[12:13], v[8:9]
	;; [unrolled: 1-line block ×3, first 2 shown]
	s_waitcnt lgkmcnt(0)
	v_add_f64 v[76:77], v[6:7], -v[74:75]
	s_mov_b32 s24, 0x4267c47c
	s_mov_b32 s16, 0x1ea71119
	;; [unrolled: 1-line block ×5, first 2 shown]
	v_add_f64 v[12:13], v[12:13], v[40:41]
	v_add_f64 v[14:15], v[14:15], v[42:43]
	s_mov_b32 s38, 0x4bc48dbf
	s_mov_b32 s25, 0xbfddbe06
	;; [unrolled: 1-line block ×6, first 2 shown]
	v_add_f64 v[12:13], v[12:13], v[36:37]
	v_add_f64 v[14:15], v[14:15], v[38:39]
	s_mov_b32 s39, 0xbfcea1e5
	v_mul_f64 v[78:79], v[76:77], s[4:5]
	s_mov_b32 s22, 0xe00740e9
	s_mov_b32 s6, 0xebaa3ed8
	;; [unrolled: 1-line block ×4, first 2 shown]
	v_add_f64 v[12:13], v[12:13], v[26:27]
	v_add_f64 v[14:15], v[14:15], v[28:29]
	s_mov_b32 s42, 0x93053d00
	s_mov_b32 s23, 0x3fec55a7
	;; [unrolled: 1-line block ×6, first 2 shown]
	v_add_f64 v[30:31], v[12:13], v[18:19]
	v_add_f64 v[44:45], v[14:15], v[20:21]
	v_add_f64 v[14:15], v[18:19], v[22:23]
	v_add_f64 v[12:13], v[18:19], -v[22:23]
	v_add_f64 v[18:19], v[20:21], -v[24:25]
	;; [unrolled: 1-line block ×3, first 2 shown]
	s_mov_b32 s37, 0x3fddbe06
	s_mov_b32 s36, s24
	v_add_f64 v[58:59], v[30:31], v[22:23]
	v_add_f64 v[44:45], v[44:45], v[24:25]
	;; [unrolled: 1-line block ×4, first 2 shown]
	v_add_f64 v[30:31], v[28:29], -v[34:35]
	v_add_f64 v[26:27], v[36:37], v[46:47]
	v_add_f64 v[28:29], v[36:37], -v[46:47]
	v_add_f64 v[36:37], v[40:41], v[50:51]
	v_add_f64 v[58:59], v[58:59], v[32:33]
	;; [unrolled: 1-line block ×4, first 2 shown]
	v_add_f64 v[32:33], v[40:41], -v[50:51]
	v_add_f64 v[40:41], v[8:9], -v[54:55]
	v_add_f64 v[34:35], v[38:39], v[48:49]
	v_add_f64 v[38:39], v[38:39], -v[48:49]
	s_mov_b32 s35, 0x3fea55e2
	v_add_f64 v[58:59], v[58:59], v[46:47]
	v_add_f64 v[62:63], v[62:63], v[48:49]
	v_add_f64 v[46:47], v[42:43], -v[52:53]
	v_add_f64 v[42:43], v[8:9], v[54:55]
	v_add_f64 v[8:9], v[4:5], v[72:73]
	;; [unrolled: 1-line block ×3, first 2 shown]
	s_mov_b32 s34, s18
	s_mov_b32 s27, 0x3fefc445
	v_add_f64 v[58:59], v[58:59], v[50:51]
	v_add_f64 v[52:53], v[62:63], v[52:53]
	v_add_f64 v[62:63], v[4:5], -v[72:73]
	v_mul_f64 v[4:5], v[76:77], s[18:19]
	v_add_f64 v[50:51], v[10:11], -v[56:57]
	v_add_f64 v[10:11], v[6:7], v[74:75]
	v_mul_f64 v[6:7], v[76:77], s[24:25]
	s_mov_b32 s26, s4
	v_add_f64 v[54:55], v[58:59], v[54:55]
	v_add_f64 v[52:53], v[52:53], v[56:57]
	v_mul_f64 v[56:57], v[76:77], s[8:9]
	v_mul_f64 v[58:59], v[76:77], s[20:21]
	v_fma_f64 v[84:85], v[8:9], s[16:17], v[4:5]
	v_fma_f64 v[86:87], v[8:9], s[16:17], -v[4:5]
	v_fma_f64 v[80:81], v[8:9], s[22:23], v[6:7]
	v_fma_f64 v[82:83], v[8:9], s[22:23], -v[6:7]
	v_add_f64 v[4:5], v[54:55], v[72:73]
	v_mul_f64 v[72:73], v[76:77], s[38:39]
	v_add_f64 v[6:7], v[52:53], v[74:75]
	v_fma_f64 v[52:53], v[8:9], s[6:7], v[78:79]
	v_fma_f64 v[54:55], v[8:9], s[6:7], -v[78:79]
	v_fma_f64 v[74:75], v[8:9], s[14:15], v[56:57]
	v_fma_f64 v[56:57], v[8:9], s[14:15], -v[56:57]
	;; [unrolled: 2-line block ×3, first 2 shown]
	v_mul_f64 v[78:79], v[10:11], s[22:23]
	v_fma_f64 v[88:89], v[8:9], s[42:43], v[72:73]
	v_fma_f64 v[8:9], v[8:9], s[42:43], -v[72:73]
	v_mul_f64 v[72:73], v[10:11], s[16:17]
	v_mul_f64 v[92:93], v[10:11], s[6:7]
	;; [unrolled: 1-line block ×5, first 2 shown]
	v_fma_f64 v[90:91], v[62:63], s[36:37], v[78:79]
	s_mov_b32 s29, 0x3fedeba7
	s_mov_b32 s28, s8
	v_fma_f64 v[94:95], v[62:63], s[34:35], v[72:73]
	s_mov_b32 s41, 0x3fe5384d
	s_mov_b32 s40, s20
	;; [unrolled: 1-line block ×4, first 2 shown]
	v_fma_f64 v[78:79], v[62:63], s[24:25], v[78:79]
	v_fma_f64 v[72:73], v[62:63], s[18:19], v[72:73]
	;; [unrolled: 1-line block ×10, first 2 shown]
	v_add_f64 v[62:63], v[0:1], v[80:81]
	v_add_f64 v[80:81], v[2:3], v[90:91]
	;; [unrolled: 1-line block ×4, first 2 shown]
	v_mul_f64 v[52:53], v[50:51], s[18:19]
	v_add_f64 v[108:109], v[0:1], v[54:55]
	v_mul_f64 v[54:55], v[48:49], s[16:17]
	v_add_f64 v[110:111], v[0:1], v[74:75]
	v_add_f64 v[112:113], v[0:1], v[56:57]
	v_mul_f64 v[74:75], v[46:47], s[4:5]
	v_add_f64 v[114:115], v[0:1], v[76:77]
	v_mul_f64 v[116:117], v[44:45], s[6:7]
	v_fma_f64 v[56:57], v[42:43], s[16:17], v[52:53]
	v_add_f64 v[118:119], v[0:1], v[58:59]
	v_fma_f64 v[76:77], v[40:41], s[34:35], v[54:55]
	v_mul_f64 v[120:121], v[34:35], s[14:15]
	v_add_f64 v[82:83], v[0:1], v[82:83]
	v_fma_f64 v[58:59], v[36:37], s[6:7], v[74:75]
	v_add_f64 v[78:79], v[2:3], v[78:79]
	v_add_f64 v[84:85], v[0:1], v[84:85]
	;; [unrolled: 1-line block ×3, first 2 shown]
	v_mul_f64 v[62:63], v[38:39], s[8:9]
	v_add_f64 v[76:77], v[76:77], v[80:81]
	v_fma_f64 v[80:81], v[32:33], s[26:27], v[116:117]
	v_add_f64 v[86:87], v[0:1], v[86:87]
	v_add_f64 v[88:89], v[0:1], v[88:89]
	;; [unrolled: 1-line block ×3, first 2 shown]
	v_mul_f64 v[0:1], v[30:31], s[20:21]
	v_add_f64 v[56:57], v[58:59], v[56:57]
	v_fma_f64 v[58:59], v[26:27], s[14:15], v[62:63]
	v_fma_f64 v[8:9], v[42:43], s[16:17], -v[52:53]
	v_add_f64 v[52:53], v[80:81], v[76:77]
	v_fma_f64 v[76:77], v[28:29], s[28:29], v[120:121]
	v_mul_f64 v[80:81], v[24:25], s[30:31]
	v_add_f64 v[124:125], v[2:3], v[10:11]
	v_fma_f64 v[10:11], v[40:41], s[18:19], v[54:55]
	v_add_f64 v[72:73], v[2:3], v[72:73]
	v_add_f64 v[98:99], v[2:3], v[98:99]
	;; [unrolled: 1-line block ×9, first 2 shown]
	v_fma_f64 v[54:55], v[22:23], s[30:31], v[0:1]
	v_add_f64 v[8:9], v[8:9], v[82:83]
	v_fma_f64 v[56:57], v[36:37], s[6:7], -v[74:75]
	v_add_f64 v[52:53], v[76:77], v[52:53]
	v_fma_f64 v[58:59], v[20:21], s[40:41], v[80:81]
	v_mul_f64 v[74:75], v[18:19], s[38:39]
	v_mul_f64 v[76:77], v[16:17], s[42:43]
	v_add_f64 v[10:11], v[10:11], v[78:79]
	v_fma_f64 v[78:79], v[32:33], s[4:5], v[116:117]
	v_add_f64 v[2:3], v[54:55], v[2:3]
	v_add_f64 v[8:9], v[56:57], v[8:9]
	v_fma_f64 v[54:55], v[26:27], s[14:15], -v[62:63]
	v_add_f64 v[52:53], v[58:59], v[52:53]
	v_fma_f64 v[56:57], v[14:15], s[42:43], v[74:75]
	v_mul_f64 v[58:59], v[50:51], s[8:9]
	v_fma_f64 v[62:63], v[12:13], s[44:45], v[76:77]
	v_add_f64 v[78:79], v[78:79], v[10:11]
	v_fma_f64 v[82:83], v[28:29], s[8:9], v[120:121]
	v_mul_f64 v[116:117], v[48:49], s[14:15]
	v_add_f64 v[54:55], v[54:55], v[8:9]
	v_fma_f64 v[0:1], v[22:23], s[30:31], -v[0:1]
	v_add_f64 v[8:9], v[56:57], v[2:3]
	v_fma_f64 v[2:3], v[42:43], s[14:15], v[58:59]
	v_mul_f64 v[56:57], v[46:47], s[38:39]
	v_add_f64 v[10:11], v[62:63], v[52:53]
	v_add_f64 v[52:53], v[82:83], v[78:79]
	v_fma_f64 v[62:63], v[40:41], s[28:29], v[116:117]
	v_mul_f64 v[78:79], v[44:45], s[42:43]
	v_add_f64 v[0:1], v[0:1], v[54:55]
	v_fma_f64 v[54:55], v[20:21], s[20:21], v[80:81]
	v_add_f64 v[2:3], v[2:3], v[84:85]
	v_fma_f64 v[80:81], v[36:37], s[42:43], v[56:57]
	v_mul_f64 v[82:83], v[38:39], s[40:41]
	v_fma_f64 v[74:75], v[14:15], s[42:43], -v[74:75]
	v_add_f64 v[62:63], v[62:63], v[90:91]
	v_fma_f64 v[84:85], v[32:33], s[44:45], v[78:79]
	v_mul_f64 v[90:91], v[34:35], s[30:31]
	v_add_f64 v[52:53], v[54:55], v[52:53]
	v_fma_f64 v[54:55], v[12:13], s[38:39], v[76:77]
	v_add_f64 v[76:77], v[80:81], v[2:3]
	v_fma_f64 v[80:81], v[26:27], s[30:31], v[82:83]
	v_add_f64 v[0:1], v[74:75], v[0:1]
	v_fma_f64 v[58:59], v[42:43], s[14:15], -v[58:59]
	v_add_f64 v[62:63], v[84:85], v[62:63]
	v_fma_f64 v[74:75], v[28:29], s[20:21], v[90:91]
	v_mul_f64 v[84:85], v[30:31], s[26:27]
	v_mul_f64 v[120:121], v[24:25], s[6:7]
	v_add_f64 v[2:3], v[54:55], v[52:53]
	v_add_f64 v[52:53], v[80:81], v[76:77]
	v_fma_f64 v[54:55], v[40:41], s[8:9], v[116:117]
	v_add_f64 v[58:59], v[58:59], v[86:87]
	v_fma_f64 v[56:57], v[36:37], s[42:43], -v[56:57]
	v_add_f64 v[62:63], v[74:75], v[62:63]
	v_fma_f64 v[74:75], v[22:23], s[6:7], v[84:85]
	v_fma_f64 v[76:77], v[20:21], s[4:5], v[120:121]
	v_mul_f64 v[80:81], v[18:19], s[36:37]
	v_mul_f64 v[86:87], v[16:17], s[22:23]
	v_add_f64 v[54:55], v[54:55], v[72:73]
	v_fma_f64 v[72:73], v[32:33], s[38:39], v[78:79]
	v_add_f64 v[56:57], v[56:57], v[58:59]
	v_fma_f64 v[58:59], v[26:27], s[30:31], -v[82:83]
	v_add_f64 v[52:53], v[74:75], v[52:53]
	v_add_f64 v[62:63], v[76:77], v[62:63]
	v_fma_f64 v[74:75], v[14:15], s[22:23], v[80:81]
	v_mul_f64 v[76:77], v[50:51], s[38:39]
	v_fma_f64 v[78:79], v[12:13], s[24:25], v[86:87]
	v_add_f64 v[72:73], v[72:73], v[54:55]
	v_fma_f64 v[82:83], v[28:29], s[40:41], v[90:91]
	v_add_f64 v[56:57], v[58:59], v[56:57]
	v_fma_f64 v[58:59], v[22:23], s[6:7], -v[84:85]
	v_mul_f64 v[84:85], v[48:49], s[42:43]
	v_add_f64 v[52:53], v[74:75], v[52:53]
	v_fma_f64 v[74:75], v[42:43], s[42:43], v[76:77]
	v_mul_f64 v[90:91], v[46:47], s[28:29]
	v_add_f64 v[54:55], v[78:79], v[62:63]
	v_add_f64 v[62:63], v[82:83], v[72:73]
	v_fma_f64 v[72:73], v[20:21], s[26:27], v[120:121]
	v_add_f64 v[56:57], v[58:59], v[56:57]
	v_fma_f64 v[58:59], v[40:41], s[44:45], v[84:85]
	v_mul_f64 v[78:79], v[44:45], s[14:15]
	v_add_f64 v[74:75], v[74:75], v[94:95]
	v_fma_f64 v[82:83], v[36:37], s[14:15], v[90:91]
	v_mul_f64 v[94:95], v[38:39], s[36:37]
	v_fma_f64 v[80:81], v[14:15], s[22:23], -v[80:81]
	v_add_f64 v[62:63], v[72:73], v[62:63]
	v_fma_f64 v[72:73], v[12:13], s[36:37], v[86:87]
	v_add_f64 v[86:87], v[58:59], v[98:99]
	v_fma_f64 v[98:99], v[32:33], s[8:9], v[78:79]
	v_mul_f64 v[116:117], v[34:35], s[22:23]
	v_add_f64 v[74:75], v[82:83], v[74:75]
	v_fma_f64 v[82:83], v[26:27], s[22:23], v[94:95]
	v_add_f64 v[56:57], v[80:81], v[56:57]
	v_mul_f64 v[80:81], v[30:31], s[18:19]
	v_add_f64 v[58:59], v[72:73], v[62:63]
	v_fma_f64 v[62:63], v[42:43], s[42:43], -v[76:77]
	v_add_f64 v[72:73], v[98:99], v[86:87]
	v_fma_f64 v[76:77], v[28:29], s[24:25], v[116:117]
	v_mul_f64 v[86:87], v[24:25], s[16:17]
	v_add_f64 v[74:75], v[82:83], v[74:75]
	v_fma_f64 v[82:83], v[40:41], s[38:39], v[84:85]
	v_fma_f64 v[84:85], v[22:23], s[16:17], v[80:81]
	v_mul_f64 v[98:99], v[18:19], s[20:21]
	v_add_f64 v[62:63], v[62:63], v[108:109]
	v_fma_f64 v[90:91], v[36:37], s[14:15], -v[90:91]
	v_add_f64 v[72:73], v[76:77], v[72:73]
	v_fma_f64 v[76:77], v[20:21], s[34:35], v[86:87]
	v_mul_f64 v[108:109], v[16:17], s[30:31]
	v_add_f64 v[82:83], v[82:83], v[92:93]
	v_fma_f64 v[78:79], v[32:33], s[28:29], v[78:79]
	v_add_f64 v[74:75], v[84:85], v[74:75]
	v_fma_f64 v[84:85], v[14:15], s[30:31], v[98:99]
	v_add_f64 v[62:63], v[90:91], v[62:63]
	v_fma_f64 v[90:91], v[26:27], s[22:23], -v[94:95]
	v_add_f64 v[76:77], v[76:77], v[72:73]
	v_mul_f64 v[92:93], v[50:51], s[40:41]
	v_fma_f64 v[94:95], v[12:13], s[40:41], v[108:109]
	v_add_f64 v[78:79], v[78:79], v[82:83]
	v_fma_f64 v[82:83], v[28:29], s[36:37], v[116:117]
	v_add_f64 v[72:73], v[84:85], v[74:75]
	v_mul_f64 v[84:85], v[48:49], s[30:31]
	v_add_f64 v[62:63], v[90:91], v[62:63]
	v_fma_f64 v[80:81], v[22:23], s[16:17], -v[80:81]
	v_fma_f64 v[90:91], v[42:43], s[30:31], v[92:93]
	v_mul_f64 v[116:117], v[46:47], s[36:37]
	v_add_f64 v[74:75], v[94:95], v[76:77]
	v_add_f64 v[76:77], v[82:83], v[78:79]
	v_fma_f64 v[78:79], v[20:21], s[18:19], v[86:87]
	v_fma_f64 v[82:83], v[40:41], s[20:21], v[84:85]
	v_mul_f64 v[86:87], v[44:45], s[22:23]
	v_add_f64 v[62:63], v[80:81], v[62:63]
	v_add_f64 v[80:81], v[90:91], v[110:111]
	v_fma_f64 v[90:91], v[36:37], s[22:23], v[116:117]
	v_mul_f64 v[94:95], v[38:39], s[4:5]
	v_fma_f64 v[98:99], v[14:15], s[30:31], -v[98:99]
	v_mul_f64 v[110:111], v[34:35], s[6:7]
	v_add_f64 v[82:83], v[82:83], v[102:103]
	v_fma_f64 v[102:103], v[32:33], s[24:25], v[86:87]
	v_add_f64 v[78:79], v[78:79], v[76:77]
	v_fma_f64 v[108:109], v[12:13], s[20:21], v[108:109]
	;; [unrolled: 2-line block ×3, first 2 shown]
	v_add_f64 v[76:77], v[98:99], v[62:63]
	v_mul_f64 v[62:63], v[30:31], s[44:45]
	v_fma_f64 v[92:93], v[42:43], s[30:31], -v[92:93]
	v_add_f64 v[82:83], v[102:103], v[82:83]
	v_fma_f64 v[98:99], v[28:29], s[26:27], v[110:111]
	v_mul_f64 v[102:103], v[24:25], s[42:43]
	v_add_f64 v[78:79], v[108:109], v[78:79]
	v_add_f64 v[80:81], v[90:91], v[80:81]
	v_fma_f64 v[84:85], v[40:41], s[40:41], v[84:85]
	v_fma_f64 v[90:91], v[22:23], s[42:43], v[62:63]
	v_add_f64 v[92:93], v[92:93], v[112:113]
	v_fma_f64 v[108:109], v[36:37], s[22:23], -v[116:117]
	v_add_f64 v[82:83], v[98:99], v[82:83]
	v_fma_f64 v[98:99], v[20:21], s[38:39], v[102:103]
	v_mul_f64 v[112:113], v[18:19], s[34:35]
	v_fma_f64 v[86:87], v[32:33], s[36:37], v[86:87]
	v_add_f64 v[84:85], v[84:85], v[96:97]
	v_add_f64 v[80:81], v[90:91], v[80:81]
	v_fma_f64 v[62:63], v[22:23], s[42:43], -v[62:63]
	v_add_f64 v[90:91], v[108:109], v[92:93]
	v_fma_f64 v[92:93], v[26:27], s[6:7], -v[94:95]
	v_add_f64 v[82:83], v[98:99], v[82:83]
	v_fma_f64 v[94:95], v[14:15], s[16:17], v[112:113]
	v_mul_f64 v[98:99], v[50:51], s[26:27]
	v_add_f64 v[84:85], v[86:87], v[84:85]
	v_fma_f64 v[86:87], v[28:29], s[4:5], v[110:111]
	v_mul_f64 v[116:117], v[16:17], s[16:17]
	v_mul_f64 v[108:109], v[48:49], s[6:7]
	v_add_f64 v[90:91], v[92:93], v[90:91]
	v_mul_f64 v[50:51], v[50:51], s[36:37]
	v_add_f64 v[80:81], v[94:95], v[80:81]
	v_fma_f64 v[92:93], v[42:43], s[6:7], v[98:99]
	v_mul_f64 v[94:95], v[46:47], s[18:19]
	v_add_f64 v[84:85], v[86:87], v[84:85]
	v_fma_f64 v[98:99], v[42:43], s[6:7], -v[98:99]
	v_fma_f64 v[96:97], v[12:13], s[18:19], v[116:117]
	v_add_f64 v[62:63], v[62:63], v[90:91]
	v_fma_f64 v[90:91], v[20:21], s[44:45], v[102:103]
	v_fma_f64 v[102:103], v[14:15], s[16:17], -v[112:113]
	v_add_f64 v[92:93], v[92:93], v[114:115]
	v_fma_f64 v[110:111], v[36:37], s[16:17], v[94:95]
	v_mul_f64 v[112:113], v[38:39], s[44:45]
	v_fma_f64 v[86:87], v[40:41], s[4:5], v[108:109]
	v_fma_f64 v[108:109], v[40:41], s[26:27], v[108:109]
	v_add_f64 v[98:99], v[98:99], v[118:119]
	v_add_f64 v[90:91], v[90:91], v[84:85]
	;; [unrolled: 1-line block ×3, first 2 shown]
	v_mul_f64 v[102:103], v[30:31], s[36:37]
	v_add_f64 v[62:63], v[110:111], v[92:93]
	v_fma_f64 v[92:93], v[26:27], s[42:43], v[112:113]
	v_fma_f64 v[94:95], v[36:37], s[16:17], -v[94:95]
	v_mul_f64 v[48:49], v[48:49], s[22:23]
	v_mul_f64 v[46:47], v[46:47], s[20:21]
	v_add_f64 v[82:83], v[96:97], v[82:83]
	v_mul_f64 v[96:97], v[44:45], s[16:17]
	v_add_f64 v[100:101], v[108:109], v[100:101]
	;; [unrolled: 2-line block ×3, first 2 shown]
	v_fma_f64 v[92:93], v[22:23], s[22:23], v[102:103]
	v_add_f64 v[94:95], v[94:95], v[98:99]
	v_fma_f64 v[98:99], v[26:27], s[42:43], -v[112:113]
	v_fma_f64 v[108:109], v[36:37], s[30:31], v[46:47]
	v_mul_f64 v[38:39], v[38:39], s[34:35]
	v_add_f64 v[86:87], v[86:87], v[104:105]
	v_fma_f64 v[104:105], v[32:33], s[34:35], v[96:97]
	v_mul_f64 v[114:115], v[34:35], s[42:43]
	v_add_f64 v[62:63], v[92:93], v[62:63]
	v_fma_f64 v[92:93], v[42:43], s[22:23], v[50:51]
	v_fma_f64 v[42:43], v[42:43], s[22:23], -v[50:51]
	v_fma_f64 v[116:117], v[12:13], s[34:35], v[116:117]
	v_fma_f64 v[96:97], v[32:33], s[18:19], v[96:97]
	v_add_f64 v[94:95], v[98:99], v[94:95]
	v_fma_f64 v[98:99], v[32:33], s[40:41], v[44:45]
	v_mul_f64 v[34:35], v[34:35], s[16:17]
	v_fma_f64 v[36:37], v[36:37], s[30:31], -v[46:47]
	v_add_f64 v[88:89], v[92:93], v[88:89]
	v_fma_f64 v[92:93], v[40:41], s[24:25], v[48:49]
	v_fma_f64 v[40:41], v[40:41], s[36:37], v[48:49]
	;; [unrolled: 1-line block ×3, first 2 shown]
	v_add_f64 v[42:43], v[42:43], v[122:123]
	v_fma_f64 v[32:33], v[32:33], s[20:21], v[44:45]
	v_add_f64 v[104:105], v[104:105], v[86:87]
	v_fma_f64 v[110:111], v[28:29], s[38:39], v[114:115]
	v_add_f64 v[88:89], v[108:109], v[88:89]
	v_add_f64 v[86:87], v[116:117], v[90:91]
	;; [unrolled: 1-line block ×3, first 2 shown]
	v_mul_f64 v[90:91], v[24:25], s[22:23]
	v_add_f64 v[92:93], v[92:93], v[106:107]
	v_mul_f64 v[30:31], v[30:31], s[8:9]
	v_add_f64 v[96:97], v[96:97], v[100:101]
	v_fma_f64 v[100:101], v[28:29], s[44:45], v[114:115]
	v_add_f64 v[44:45], v[48:49], v[88:89]
	v_fma_f64 v[48:49], v[28:29], s[18:19], v[34:35]
	v_add_f64 v[36:37], v[36:37], v[42:43]
	v_fma_f64 v[26:27], v[26:27], s[16:17], -v[38:39]
	v_add_f64 v[32:33], v[32:33], v[40:41]
	v_fma_f64 v[28:29], v[28:29], s[34:35], v[34:35]
	v_add_f64 v[104:105], v[110:111], v[104:105]
	v_fma_f64 v[110:111], v[20:21], s[24:25], v[90:91]
	v_fma_f64 v[46:47], v[20:21], s[36:37], v[90:91]
	v_add_f64 v[90:91], v[98:99], v[92:93]
	v_fma_f64 v[42:43], v[22:23], s[14:15], v[30:31]
	v_mul_f64 v[24:25], v[24:25], s[14:15]
	v_add_f64 v[50:51], v[100:101], v[96:97]
	v_fma_f64 v[96:97], v[22:23], s[22:23], -v[102:103]
	v_add_f64 v[26:27], v[26:27], v[36:37]
	v_fma_f64 v[22:23], v[22:23], s[14:15], -v[30:31]
	v_mul_f64 v[30:31], v[18:19], s[8:9]
	v_add_f64 v[28:29], v[28:29], v[32:33]
	v_mul_f64 v[32:33], v[16:17], s[14:15]
	v_add_f64 v[40:41], v[48:49], v[90:91]
	v_add_f64 v[42:43], v[42:43], v[44:45]
	v_fma_f64 v[44:45], v[20:21], s[28:29], v[24:25]
	v_fma_f64 v[20:21], v[20:21], s[8:9], v[24:25]
	v_mul_f64 v[18:19], v[18:19], s[26:27]
	v_mul_f64 v[16:17], v[16:17], s[6:7]
	v_add_f64 v[104:105], v[110:111], v[104:105]
	v_add_f64 v[26:27], v[22:23], v[26:27]
	v_fma_f64 v[22:23], v[14:15], s[14:15], v[30:31]
	v_fma_f64 v[36:37], v[12:13], s[28:29], v[32:33]
	v_add_f64 v[34:35], v[46:47], v[50:51]
	v_add_f64 v[24:25], v[44:45], v[40:41]
	;; [unrolled: 1-line block ×3, first 2 shown]
	v_fma_f64 v[20:21], v[12:13], s[8:9], v[32:33]
	v_fma_f64 v[32:33], v[14:15], s[6:7], v[18:19]
	;; [unrolled: 1-line block ×3, first 2 shown]
	v_add_f64 v[38:39], v[96:97], v[94:95]
	v_fma_f64 v[30:31], v[14:15], s[14:15], -v[30:31]
	v_fma_f64 v[44:45], v[14:15], s[6:7], -v[18:19]
	v_fma_f64 v[46:47], v[12:13], s[26:27], v[16:17]
	v_add_f64 v[12:13], v[22:23], v[62:63]
	v_add_f64 v[14:15], v[36:37], v[104:105]
	;; [unrolled: 1-line block ×8, first 2 shown]
	v_mad_u32_u24 v28, v66, s33, v67
	s_waitcnt lgkmcnt(0)
	; wave barrier
	ds_write_b128 v28, v[4:7]
	ds_write_b128 v28, v[8:11] offset:16
	ds_write_b128 v28, v[52:55] offset:32
	;; [unrolled: 1-line block ×12, first 2 shown]
	s_waitcnt lgkmcnt(0)
	; wave barrier
	s_waitcnt lgkmcnt(0)
	ds_read_b128 v[4:7], v71
	ds_read_b128 v[16:19], v67 offset:512
	ds_read_b128 v[12:15], v67 offset:3328
	;; [unrolled: 1-line block ×11, first 2 shown]
	v_cmp_gt_u32_e32 vcc, 16, v66
                                        ; implicit-def: $vgpr42_vgpr43
	s_and_saveexec_b64 s[4:5], vcc
	s_cbranch_execz .LBB0_23
; %bb.22:
	ds_read_b128 v[0:3], v67 offset:3072
	ds_read_b128 v[40:43], v67 offset:6400
.LBB0_23:
	s_or_b64 exec, exec, s[4:5]
	s_movk_i32 s4, 0x4f
	v_or_b32_e32 v62, 64, v66
	v_mul_lo_u16_sdwa v76, v62, s4 dst_sel:DWORD dst_unused:UNUSED_PAD src0_sel:BYTE_0 src1_sel:DWORD
	v_lshrrev_b16_e32 v99, 10, v76
	v_mul_lo_u16_e32 v76, 13, v99
	v_mov_b32_e32 v92, 4
	v_sub_u16_e32 v62, v62, v76
	v_lshlrev_b32_sdwa v100, v92, v62 dst_sel:DWORD dst_unused:UNUSED_PAD src0_sel:DWORD src1_sel:BYTE_0
	v_or_b32_e32 v62, 0x60, v66
	v_mul_lo_u16_sdwa v76, v62, s4 dst_sel:DWORD dst_unused:UNUSED_PAD src0_sel:BYTE_0 src1_sel:DWORD
	v_lshrrev_b16_e32 v110, 10, v76
	v_mul_lo_u16_e32 v76, 13, v110
	v_mul_lo_u16_sdwa v44, v66, s4 dst_sel:DWORD dst_unused:UNUSED_PAD src0_sel:BYTE_0 src1_sel:DWORD
	v_sub_u16_e32 v62, v62, v76
	v_lshrrev_b16_e32 v63, 10, v44
	v_lshlrev_b32_sdwa v111, v92, v62 dst_sel:DWORD dst_unused:UNUSED_PAD src0_sel:DWORD src1_sel:BYTE_0
	v_or_b32_e32 v62, 0x80, v66
	v_mul_lo_u16_e32 v44, 13, v63
	v_mul_lo_u16_sdwa v84, v62, s4 dst_sel:DWORD dst_unused:UNUSED_PAD src0_sel:BYTE_0 src1_sel:DWORD
	v_sub_u16_e32 v44, v66, v44
	v_lshrrev_b16_e32 v112, 10, v84
	v_lshlrev_b32_sdwa v96, v92, v44 dst_sel:DWORD dst_unused:UNUSED_PAD src0_sel:DWORD src1_sel:BYTE_0
	v_or_b32_e32 v44, 32, v66
	;; [unrolled: 6-line block ×3, first 2 shown]
	v_mul_lo_u16_e32 v45, 13, v97
	v_mul_lo_u16_sdwa v84, v62, s4 dst_sel:DWORD dst_unused:UNUSED_PAD src0_sel:BYTE_0 src1_sel:DWORD
	v_sub_u16_e32 v44, v44, v45
	v_lshrrev_b16_e32 v114, 10, v84
	v_lshlrev_b32_sdwa v98, v92, v44 dst_sel:DWORD dst_unused:UNUSED_PAD src0_sel:DWORD src1_sel:BYTE_0
	global_load_dwordx4 v[44:47], v96, s[12:13]
	global_load_dwordx4 v[72:75], v98, s[12:13]
	v_mul_lo_u16_e32 v84, 13, v114
	v_sub_u16_e32 v62, v62, v84
	v_lshlrev_b32_sdwa v115, v92, v62 dst_sel:DWORD dst_unused:UNUSED_PAD src0_sel:DWORD src1_sel:BYTE_0
	v_mul_lo_u16_sdwa v62, v61, s4 dst_sel:DWORD dst_unused:UNUSED_PAD src0_sel:BYTE_0 src1_sel:DWORD
	global_load_dwordx4 v[76:79], v100, s[12:13]
	global_load_dwordx4 v[80:83], v111, s[12:13]
	v_lshrrev_b16_e32 v62, 10, v62
	v_mul_lo_u16_e32 v93, 13, v62
	v_sub_u16_e32 v61, v61, v93
	global_load_dwordx4 v[84:87], v113, s[12:13]
	global_load_dwordx4 v[88:91], v115, s[12:13]
	v_lshlrev_b32_sdwa v61, v92, v61 dst_sel:DWORD dst_unused:UNUSED_PAD src0_sel:DWORD src1_sel:BYTE_0
	global_load_dwordx4 v[92:95], v61, s[12:13]
	s_movk_i32 s6, 0x1a0
	v_mad_u32_u24 v63, v63, s6, 0
	v_mad_u32_u24 v97, v97, s6, 0
	v_add3_u32 v63, v63, v96, v60
	v_add3_u32 v116, v97, v98, v60
	v_mad_u32_u24 v99, v99, s6, 0
	v_add3_u32 v117, v99, v100, v60
	s_waitcnt lgkmcnt(0)
	; wave barrier
	s_waitcnt vmcnt(6) lgkmcnt(0)
	v_mul_f64 v[96:97], v[14:15], v[46:47]
	v_mul_f64 v[46:47], v[12:13], v[46:47]
	s_waitcnt vmcnt(5)
	v_mul_f64 v[98:99], v[10:11], v[74:75]
	v_mul_f64 v[74:75], v[8:9], v[74:75]
	s_waitcnt vmcnt(4)
	v_mul_f64 v[100:101], v[34:35], v[78:79]
	v_mul_f64 v[78:79], v[32:33], v[78:79]
	s_waitcnt vmcnt(3)
	v_mul_f64 v[102:103], v[22:23], v[82:83]
	v_mul_f64 v[82:83], v[20:21], v[82:83]
	s_waitcnt vmcnt(2)
	v_mul_f64 v[104:105], v[38:39], v[86:87]
	v_mul_f64 v[86:87], v[36:37], v[86:87]
	s_waitcnt vmcnt(1)
	v_mul_f64 v[106:107], v[30:31], v[90:91]
	v_mul_f64 v[90:91], v[28:29], v[90:91]
	s_waitcnt vmcnt(0)
	v_mul_f64 v[108:109], v[42:43], v[94:95]
	v_fma_f64 v[12:13], v[12:13], v[44:45], v[96:97]
	v_fma_f64 v[14:15], v[14:15], v[44:45], -v[46:47]
	v_mul_f64 v[44:45], v[40:41], v[94:95]
	v_fma_f64 v[46:47], v[8:9], v[72:73], v[98:99]
	v_fma_f64 v[72:73], v[10:11], v[72:73], -v[74:75]
	v_fma_f64 v[32:33], v[32:33], v[76:77], v[100:101]
	v_fma_f64 v[34:35], v[34:35], v[76:77], -v[78:79]
	;; [unrolled: 2-line block ×6, first 2 shown]
	v_add_f64 v[8:9], v[4:5], -v[12:13]
	v_add_f64 v[10:11], v[6:7], -v[14:15]
	;; [unrolled: 1-line block ×14, first 2 shown]
	v_fma_f64 v[44:45], v[16:17], 2.0, -v[20:21]
	v_fma_f64 v[46:47], v[18:19], 2.0, -v[22:23]
	;; [unrolled: 1-line block ×14, first 2 shown]
	v_mad_u32_u24 v56, v110, s6, 0
	v_add3_u32 v56, v56, v111, v60
	ds_write_b128 v63, v[8:11] offset:208
	ds_write_b128 v63, v[4:7]
	ds_write_b128 v116, v[44:47]
	ds_write_b128 v116, v[20:23] offset:208
	ds_write_b128 v117, v[16:19]
	ds_write_b128 v117, v[12:15] offset:208
	;; [unrolled: 2-line block ×3, first 2 shown]
	v_mad_u32_u24 v56, v112, s6, 0
	v_add3_u32 v56, v56, v113, v60
	ds_write_b128 v56, v[24:27]
	ds_write_b128 v56, v[28:31] offset:208
	v_mad_u32_u24 v56, v114, s6, 0
	v_add3_u32 v56, v56, v115, v60
	ds_write_b128 v56, v[52:55]
	ds_write_b128 v56, v[40:43] offset:208
	s_and_saveexec_b64 s[4:5], vcc
	s_cbranch_execz .LBB0_25
; %bb.24:
	v_mad_u32_u24 v56, v62, s6, 0
	v_add3_u32 v56, v56, v61, v60
	ds_write_b128 v56, v[0:3]
	ds_write_b128 v56, v[36:39] offset:208
.LBB0_25:
	s_or_b64 exec, exec, s[4:5]
	v_cmp_gt_u32_e32 vcc, 26, v66
	s_waitcnt lgkmcnt(0)
	; wave barrier
	s_waitcnt lgkmcnt(0)
                                        ; implicit-def: $vgpr62_vgpr63
                                        ; implicit-def: $vgpr58_vgpr59
	s_and_saveexec_b64 s[4:5], vcc
	s_cbranch_execz .LBB0_27
; %bb.26:
	ds_read_b128 v[4:7], v71
	ds_read_b128 v[8:11], v67 offset:416
	ds_read_b128 v[44:47], v67 offset:832
	;; [unrolled: 1-line block ×15, first 2 shown]
.LBB0_27:
	s_or_b64 exec, exec, s[4:5]
	s_waitcnt lgkmcnt(0)
	; wave barrier
	s_waitcnt lgkmcnt(0)
	s_and_saveexec_b64 s[4:5], vcc
	s_cbranch_execz .LBB0_29
; %bb.28:
	v_subrev_u32_e32 v72, 26, v66
	v_cndmask_b32_e32 v72, v72, v66, vcc
	v_mul_i32_i24_e32 v72, 15, v72
	v_mov_b32_e32 v73, 0
	v_lshlrev_b64 v[72:73], 4, v[72:73]
	v_mov_b32_e32 v74, s13
	v_add_co_u32_e32 v116, vcc, s12, v72
	v_addc_co_u32_e32 v117, vcc, v74, v73, vcc
	global_load_dwordx4 v[72:75], v[116:117], off offset:224
	global_load_dwordx4 v[76:79], v[116:117], off offset:352
	;; [unrolled: 1-line block ×11, first 2 shown]
	s_mov_b32 s6, 0x667f3bcd
	s_mov_b32 s7, 0x3fe6a09e
	;; [unrolled: 1-line block ×12, first 2 shown]
	s_waitcnt vmcnt(10)
	v_mul_f64 v[118:119], v[44:45], v[74:75]
	v_mul_f64 v[74:75], v[46:47], v[74:75]
	s_waitcnt vmcnt(9)
	v_mul_f64 v[120:121], v[52:53], v[78:79]
	v_mul_f64 v[78:79], v[54:55], v[78:79]
	v_fma_f64 v[118:119], v[46:47], v[72:73], -v[118:119]
	v_fma_f64 v[122:123], v[44:45], v[72:73], v[74:75]
	global_load_dwordx4 v[44:47], v[116:117], off offset:304
	global_load_dwordx4 v[72:75], v[116:117], off offset:272
	v_fma_f64 v[120:121], v[54:55], v[76:77], -v[120:121]
	v_fma_f64 v[124:125], v[52:53], v[76:77], v[78:79]
	global_load_dwordx4 v[52:55], v[116:117], off offset:432
	global_load_dwordx4 v[76:79], v[116:117], off offset:400
	s_waitcnt vmcnt(12)
	v_mul_f64 v[116:117], v[50:51], v[82:83]
	v_mul_f64 v[82:83], v[48:49], v[82:83]
	v_fma_f64 v[48:49], v[48:49], v[80:81], v[116:117]
	v_fma_f64 v[50:51], v[50:51], v[80:81], -v[82:83]
	s_waitcnt vmcnt(11)
	v_mul_f64 v[80:81], v[62:63], v[86:87]
	v_mul_f64 v[82:83], v[60:61], v[86:87]
	s_waitcnt vmcnt(9)
	v_mul_f64 v[86:87], v[20:21], v[94:95]
	v_mul_f64 v[94:95], v[22:23], v[94:95]
	v_fma_f64 v[60:61], v[60:61], v[84:85], v[80:81]
	v_fma_f64 v[62:63], v[62:63], v[84:85], -v[82:83]
	s_waitcnt vmcnt(5)
	v_mul_f64 v[84:85], v[40:41], v[110:111]
	v_mul_f64 v[110:111], v[42:43], v[110:111]
	v_fma_f64 v[20:21], v[20:21], v[92:93], v[94:95]
	v_mul_f64 v[80:81], v[24:25], v[102:103]
	v_mul_f64 v[82:83], v[18:19], v[90:91]
	v_fma_f64 v[22:23], v[22:23], v[92:93], -v[86:87]
	v_mul_f64 v[86:87], v[2:3], v[106:107]
	v_mul_f64 v[92:93], v[8:9], v[98:99]
	v_fma_f64 v[42:43], v[42:43], v[108:109], -v[84:85]
	v_fma_f64 v[40:41], v[40:41], v[108:109], v[110:111]
	s_waitcnt vmcnt(4)
	v_mul_f64 v[84:85], v[28:29], v[114:115]
	v_add_f64 v[42:43], v[22:23], -v[42:43]
	v_add_f64 v[40:41], v[20:21], -v[40:41]
	v_fma_f64 v[22:23], v[22:23], 2.0, -v[42:43]
	s_waitcnt vmcnt(3)
	v_mul_f64 v[94:95], v[34:35], v[46:47]
	v_mul_f64 v[46:47], v[32:33], v[46:47]
	s_waitcnt vmcnt(2)
	v_mul_f64 v[108:109], v[14:15], v[74:75]
	s_waitcnt vmcnt(1)
	v_mul_f64 v[110:111], v[58:59], v[54:55]
	v_mul_f64 v[54:55], v[56:57], v[54:55]
	;; [unrolled: 1-line block ×3, first 2 shown]
	v_fma_f64 v[32:33], v[32:33], v[44:45], v[94:95]
	v_fma_f64 v[34:35], v[34:35], v[44:45], -v[46:47]
	s_waitcnt vmcnt(0)
	v_mul_f64 v[44:45], v[38:39], v[78:79]
	v_mul_f64 v[46:47], v[10:11], v[98:99]
	;; [unrolled: 1-line block ×3, first 2 shown]
	v_fma_f64 v[56:57], v[56:57], v[52:53], v[110:111]
	v_fma_f64 v[52:53], v[58:59], v[52:53], -v[54:55]
	v_mul_f64 v[54:55], v[36:37], v[78:79]
	v_mul_f64 v[58:59], v[16:17], v[90:91]
	;; [unrolled: 1-line block ×4, first 2 shown]
	v_fma_f64 v[26:27], v[26:27], v[100:101], -v[80:81]
	v_fma_f64 v[16:17], v[16:17], v[88:89], v[82:83]
	v_fma_f64 v[0:1], v[0:1], v[104:105], v[86:87]
	v_fma_f64 v[10:11], v[10:11], v[96:97], -v[92:93]
	v_fma_f64 v[30:31], v[30:31], v[112:113], -v[84:85]
	v_fma_f64 v[12:13], v[12:13], v[72:73], v[108:109]
	v_fma_f64 v[36:37], v[36:37], v[76:77], v[44:45]
	;; [unrolled: 1-line block ×3, first 2 shown]
	v_fma_f64 v[18:19], v[18:19], v[88:89], -v[58:59]
	v_fma_f64 v[2:3], v[2:3], v[104:105], -v[78:79]
	v_fma_f64 v[24:25], v[24:25], v[100:101], v[90:91]
	v_add_f64 v[44:45], v[118:119], -v[120:121]
	v_add_f64 v[46:47], v[48:49], -v[60:61]
	;; [unrolled: 1-line block ×7, first 2 shown]
	v_fma_f64 v[28:29], v[28:29], v[112:113], v[94:95]
	v_fma_f64 v[14:15], v[14:15], v[72:73], -v[74:75]
	v_fma_f64 v[38:39], v[38:39], v[76:77], -v[54:55]
	v_add_f64 v[54:55], v[122:123], -v[124:125]
	v_add_f64 v[58:59], v[50:51], -v[62:63]
	;; [unrolled: 1-line block ×11, first 2 shown]
	v_add_f64 v[76:77], v[54:55], v[58:59]
	v_add_f64 v[78:79], v[40:41], v[52:53]
	v_fma_f64 v[82:83], v[60:61], s[6:7], v[62:63]
	v_fma_f64 v[88:89], v[6:7], 2.0, -v[26:27]
	v_fma_f64 v[84:85], v[74:75], s[6:7], v[72:73]
	v_add_f64 v[86:87], v[24:25], v[2:3]
	v_fma_f64 v[6:7], v[48:49], 2.0, -v[46:47]
	v_add_f64 v[80:81], v[28:29], v[38:39]
	v_fma_f64 v[8:9], v[8:9], 2.0, -v[28:29]
	v_fma_f64 v[12:13], v[12:13], 2.0, -v[36:37]
	v_fma_f64 v[48:49], v[76:77], s[8:9], v[82:83]
	v_fma_f64 v[2:3], v[18:19], 2.0, -v[2:3]
	v_fma_f64 v[82:83], v[78:79], s[8:9], v[84:85]
	v_fma_f64 v[84:85], v[10:11], 2.0, -v[30:31]
	v_fma_f64 v[10:11], v[14:15], 2.0, -v[38:39]
	;; [unrolled: 1-line block ×4, first 2 shown]
	v_fma_f64 v[32:33], v[76:77], s[6:7], v[86:87]
	v_fma_f64 v[18:19], v[122:123], 2.0, -v[54:55]
	v_fma_f64 v[46:47], v[78:79], s[6:7], v[80:81]
	v_add_f64 v[36:37], v[88:89], -v[2:3]
	v_fma_f64 v[4:5], v[4:5], 2.0, -v[24:25]
	v_add_f64 v[90:91], v[84:85], -v[10:11]
	v_fma_f64 v[0:1], v[16:17], 2.0, -v[0:1]
	v_add_f64 v[10:11], v[14:15], -v[20:21]
	v_fma_f64 v[92:93], v[60:61], s[6:7], v[32:33]
	v_fma_f64 v[20:21], v[34:35], 2.0, -v[52:53]
	v_add_f64 v[32:33], v[8:9], -v[12:13]
	v_fma_f64 v[34:35], v[26:27], 2.0, -v[62:63]
	v_fma_f64 v[12:13], v[44:45], 2.0, -v[60:61]
	;; [unrolled: 1-line block ×4, first 2 shown]
	v_fma_f64 v[38:39], v[74:75], s[6:7], v[46:47]
	v_fma_f64 v[46:47], v[82:83], s[12:13], v[48:49]
	v_add_f64 v[56:57], v[18:19], -v[6:7]
	v_fma_f64 v[42:43], v[118:119], 2.0, -v[44:45]
	v_fma_f64 v[44:45], v[50:51], 2.0, -v[58:59]
	v_fma_f64 v[16:17], v[12:13], s[8:9], v[34:35]
	v_fma_f64 v[50:51], v[54:55], 2.0, -v[76:77]
	v_fma_f64 v[40:41], v[40:41], 2.0, -v[78:79]
	;; [unrolled: 1-line block ×4, first 2 shown]
	v_fma_f64 v[54:55], v[30:31], s[8:9], v[60:61]
	v_fma_f64 v[2:3], v[38:39], s[14:15], v[46:47]
	v_add_f64 v[46:47], v[36:37], -v[56:57]
	v_add_f64 v[52:53], v[90:91], -v[10:11]
	v_add_f64 v[20:21], v[22:23], -v[20:21]
	v_add_f64 v[44:45], v[42:43], -v[44:45]
	v_add_f64 v[76:77], v[4:5], -v[0:1]
	v_fma_f64 v[78:79], v[50:51], s[8:9], v[16:17]
	v_fma_f64 v[0:1], v[40:41], s[8:9], v[28:29]
	;; [unrolled: 1-line block ×5, first 2 shown]
	v_add_f64 v[74:75], v[32:33], v[20:21]
	v_fma_f64 v[40:41], v[88:89], 2.0, -v[36:37]
	v_fma_f64 v[42:43], v[42:43], 2.0, -v[44:45]
	;; [unrolled: 1-line block ×4, first 2 shown]
	v_add_f64 v[88:89], v[76:77], v[44:45]
	v_fma_f64 v[44:45], v[30:31], s[6:7], v[0:1]
	v_fma_f64 v[94:95], v[12:13], s[6:7], v[16:17]
	;; [unrolled: 1-line block ×5, first 2 shown]
	v_fma_f64 v[4:5], v[4:5], 2.0, -v[76:77]
	v_add_f64 v[58:59], v[50:51], -v[8:9]
	v_fma_f64 v[0:1], v[18:19], 2.0, -v[56:57]
	v_fma_f64 v[56:57], v[84:85], 2.0, -v[90:91]
	;; [unrolled: 1-line block ×3, first 2 shown]
	v_fma_f64 v[12:13], v[74:75], s[6:7], v[88:89]
	v_fma_f64 v[16:17], v[44:45], s[16:17], v[94:95]
	;; [unrolled: 1-line block ×3, first 2 shown]
	v_fma_f64 v[6:7], v[48:49], 2.0, -v[2:3]
	v_add_f64 v[42:43], v[40:41], -v[42:43]
	v_add_f64 v[20:21], v[4:5], -v[0:1]
	v_fma_f64 v[48:49], v[62:63], 2.0, -v[48:49]
	v_add_f64 v[84:85], v[56:57], -v[8:9]
	v_fma_f64 v[62:63], v[72:73], 2.0, -v[82:83]
	v_fma_f64 v[0:1], v[82:83], s[16:17], v[26:27]
	v_fma_f64 v[8:9], v[52:53], s[6:7], v[12:13]
	v_fma_f64 v[12:13], v[54:55], s[12:13], v[16:17]
	v_fma_f64 v[82:83], v[36:37], 2.0, -v[46:47]
	v_fma_f64 v[36:37], v[90:91], 2.0, -v[52:53]
	;; [unrolled: 1-line block ×11, first 2 shown]
	v_add_f64 v[18:19], v[42:43], -v[58:59]
	v_fma_f64 v[44:45], v[54:55], s[18:19], v[52:53]
	v_fma_f64 v[60:61], v[40:41], 2.0, -v[42:43]
	v_fma_f64 v[40:41], v[56:57], 2.0, -v[84:85]
	;; [unrolled: 1-line block ×4, first 2 shown]
	v_fma_f64 v[56:57], v[28:29], s[18:19], v[24:25]
	v_fma_f64 v[38:39], v[36:37], s[8:9], v[82:83]
	;; [unrolled: 1-line block ×5, first 2 shown]
	v_fma_f64 v[22:23], v[46:47], 2.0, -v[10:11]
	v_fma_f64 v[30:31], v[42:43], 2.0, -v[18:19]
	v_fma_f64 v[42:43], v[28:29], s[14:15], v[44:45]
	v_add_f64 v[46:47], v[60:61], -v[40:41]
	v_add_f64 v[44:45], v[4:5], -v[50:51]
	v_fma_f64 v[40:41], v[54:55], s[16:17], v[56:57]
	v_fma_f64 v[38:39], v[32:33], s[8:9], v[38:39]
	;; [unrolled: 1-line block ×5, first 2 shown]
	v_add_f64 v[16:17], v[20:21], v[84:85]
	v_fma_f64 v[62:63], v[60:61], 2.0, -v[46:47]
	v_fma_f64 v[60:61], v[4:5], 2.0, -v[44:45]
	;; [unrolled: 1-line block ×12, first 2 shown]
	ds_write_b128 v71, v[60:63]
	ds_write_b128 v67, v[56:59] offset:416
	ds_write_b128 v67, v[52:55] offset:832
	;; [unrolled: 1-line block ×15, first 2 shown]
.LBB0_29:
	s_or_b64 exec, exec, s[4:5]
	s_waitcnt lgkmcnt(0)
	; wave barrier
	s_waitcnt lgkmcnt(0)
	s_and_saveexec_b64 s[4:5], s[0:1]
	s_cbranch_execz .LBB0_31
; %bb.30:
	v_mul_lo_u32 v0, s3, v68
	v_mul_lo_u32 v1, s2, v69
	v_mad_u64_u32 v[4:5], s[0:1], s2, v68, 0
	v_mov_b32_e32 v6, s11
	v_lshl_add_u32 v10, v66, 4, v70
	v_add3_u32 v5, v5, v1, v0
	v_lshlrev_b64 v[4:5], 4, v[4:5]
	v_mov_b32_e32 v67, 0
	v_add_co_u32_e32 v7, vcc, s10, v4
	v_addc_co_u32_e32 v6, vcc, v6, v5, vcc
	v_lshlrev_b64 v[4:5], 4, v[64:65]
	ds_read_b128 v[0:3], v10
	v_add_co_u32_e32 v11, vcc, v7, v4
	v_addc_co_u32_e32 v12, vcc, v6, v5, vcc
	v_lshlrev_b64 v[4:5], 4, v[66:67]
	v_add_co_u32_e32 v8, vcc, v11, v4
	v_addc_co_u32_e32 v9, vcc, v12, v5, vcc
	ds_read_b128 v[4:7], v10 offset:512
	s_waitcnt lgkmcnt(1)
	global_store_dwordx4 v[8:9], v[0:3], off
	s_nop 0
	v_add_u32_e32 v0, 32, v66
	v_mov_b32_e32 v1, v67
	v_lshlrev_b64 v[0:1], 4, v[0:1]
	v_add_co_u32_e32 v0, vcc, v11, v0
	v_addc_co_u32_e32 v1, vcc, v12, v1, vcc
	s_waitcnt lgkmcnt(0)
	global_store_dwordx4 v[0:1], v[4:7], off
	ds_read_b128 v[0:3], v10 offset:1024
	v_add_u32_e32 v4, 64, v66
	v_mov_b32_e32 v5, v67
	v_lshlrev_b64 v[4:5], 4, v[4:5]
	v_add_co_u32_e32 v8, vcc, v11, v4
	v_addc_co_u32_e32 v9, vcc, v12, v5, vcc
	ds_read_b128 v[4:7], v10 offset:1536
	s_waitcnt lgkmcnt(1)
	global_store_dwordx4 v[8:9], v[0:3], off
	s_nop 0
	v_add_u32_e32 v0, 0x60, v66
	v_mov_b32_e32 v1, v67
	v_lshlrev_b64 v[0:1], 4, v[0:1]
	v_add_co_u32_e32 v0, vcc, v11, v0
	v_addc_co_u32_e32 v1, vcc, v12, v1, vcc
	s_waitcnt lgkmcnt(0)
	global_store_dwordx4 v[0:1], v[4:7], off
	ds_read_b128 v[0:3], v10 offset:2048
	v_add_u32_e32 v4, 0x80, v66
	v_mov_b32_e32 v5, v67
	;; [unrolled: 17-line block ×5, first 2 shown]
	v_lshlrev_b64 v[4:5], 4, v[4:5]
	v_add_co_u32_e32 v8, vcc, v11, v4
	v_addc_co_u32_e32 v9, vcc, v12, v5, vcc
	ds_read_b128 v[4:7], v10 offset:5632
	s_waitcnt lgkmcnt(1)
	global_store_dwordx4 v[8:9], v[0:3], off
	s_nop 0
	v_add_u32_e32 v0, 0x160, v66
	v_mov_b32_e32 v1, v67
	v_lshlrev_b64 v[0:1], 4, v[0:1]
	v_add_u32_e32 v66, 0x180, v66
	v_add_co_u32_e32 v0, vcc, v11, v0
	v_addc_co_u32_e32 v1, vcc, v12, v1, vcc
	s_waitcnt lgkmcnt(0)
	global_store_dwordx4 v[0:1], v[4:7], off
	ds_read_b128 v[0:3], v10 offset:6144
	v_lshlrev_b64 v[4:5], 4, v[66:67]
	v_add_co_u32_e32 v4, vcc, v11, v4
	v_addc_co_u32_e32 v5, vcc, v12, v5, vcc
	s_waitcnt lgkmcnt(0)
	global_store_dwordx4 v[4:5], v[0:3], off
.LBB0_31:
	s_endpgm
	.section	.rodata,"a",@progbits
	.p2align	6, 0x0
	.amdhsa_kernel fft_rtc_back_len416_factors_13_2_16_wgs_64_tpt_32_dp_op_CI_CI_unitstride_sbrr_C2R_dirReg
		.amdhsa_group_segment_fixed_size 0
		.amdhsa_private_segment_fixed_size 0
		.amdhsa_kernarg_size 104
		.amdhsa_user_sgpr_count 6
		.amdhsa_user_sgpr_private_segment_buffer 1
		.amdhsa_user_sgpr_dispatch_ptr 0
		.amdhsa_user_sgpr_queue_ptr 0
		.amdhsa_user_sgpr_kernarg_segment_ptr 1
		.amdhsa_user_sgpr_dispatch_id 0
		.amdhsa_user_sgpr_flat_scratch_init 0
		.amdhsa_user_sgpr_private_segment_size 0
		.amdhsa_uses_dynamic_stack 0
		.amdhsa_system_sgpr_private_segment_wavefront_offset 0
		.amdhsa_system_sgpr_workgroup_id_x 1
		.amdhsa_system_sgpr_workgroup_id_y 0
		.amdhsa_system_sgpr_workgroup_id_z 0
		.amdhsa_system_sgpr_workgroup_info 0
		.amdhsa_system_vgpr_workitem_id 0
		.amdhsa_next_free_vgpr 126
		.amdhsa_next_free_sgpr 46
		.amdhsa_reserve_vcc 1
		.amdhsa_reserve_flat_scratch 0
		.amdhsa_float_round_mode_32 0
		.amdhsa_float_round_mode_16_64 0
		.amdhsa_float_denorm_mode_32 3
		.amdhsa_float_denorm_mode_16_64 3
		.amdhsa_dx10_clamp 1
		.amdhsa_ieee_mode 1
		.amdhsa_fp16_overflow 0
		.amdhsa_exception_fp_ieee_invalid_op 0
		.amdhsa_exception_fp_denorm_src 0
		.amdhsa_exception_fp_ieee_div_zero 0
		.amdhsa_exception_fp_ieee_overflow 0
		.amdhsa_exception_fp_ieee_underflow 0
		.amdhsa_exception_fp_ieee_inexact 0
		.amdhsa_exception_int_div_zero 0
	.end_amdhsa_kernel
	.text
.Lfunc_end0:
	.size	fft_rtc_back_len416_factors_13_2_16_wgs_64_tpt_32_dp_op_CI_CI_unitstride_sbrr_C2R_dirReg, .Lfunc_end0-fft_rtc_back_len416_factors_13_2_16_wgs_64_tpt_32_dp_op_CI_CI_unitstride_sbrr_C2R_dirReg
                                        ; -- End function
	.section	.AMDGPU.csdata,"",@progbits
; Kernel info:
; codeLenInByte = 10828
; NumSgprs: 50
; NumVgprs: 126
; ScratchSize: 0
; MemoryBound: 0
; FloatMode: 240
; IeeeMode: 1
; LDSByteSize: 0 bytes/workgroup (compile time only)
; SGPRBlocks: 6
; VGPRBlocks: 31
; NumSGPRsForWavesPerEU: 50
; NumVGPRsForWavesPerEU: 126
; Occupancy: 2
; WaveLimiterHint : 1
; COMPUTE_PGM_RSRC2:SCRATCH_EN: 0
; COMPUTE_PGM_RSRC2:USER_SGPR: 6
; COMPUTE_PGM_RSRC2:TRAP_HANDLER: 0
; COMPUTE_PGM_RSRC2:TGID_X_EN: 1
; COMPUTE_PGM_RSRC2:TGID_Y_EN: 0
; COMPUTE_PGM_RSRC2:TGID_Z_EN: 0
; COMPUTE_PGM_RSRC2:TIDIG_COMP_CNT: 0
	.type	__hip_cuid_f67e4a2684e44869,@object ; @__hip_cuid_f67e4a2684e44869
	.section	.bss,"aw",@nobits
	.globl	__hip_cuid_f67e4a2684e44869
__hip_cuid_f67e4a2684e44869:
	.byte	0                               ; 0x0
	.size	__hip_cuid_f67e4a2684e44869, 1

	.ident	"AMD clang version 19.0.0git (https://github.com/RadeonOpenCompute/llvm-project roc-6.4.0 25133 c7fe45cf4b819c5991fe208aaa96edf142730f1d)"
	.section	".note.GNU-stack","",@progbits
	.addrsig
	.addrsig_sym __hip_cuid_f67e4a2684e44869
	.amdgpu_metadata
---
amdhsa.kernels:
  - .args:
      - .actual_access:  read_only
        .address_space:  global
        .offset:         0
        .size:           8
        .value_kind:     global_buffer
      - .offset:         8
        .size:           8
        .value_kind:     by_value
      - .actual_access:  read_only
        .address_space:  global
        .offset:         16
        .size:           8
        .value_kind:     global_buffer
      - .actual_access:  read_only
        .address_space:  global
        .offset:         24
        .size:           8
        .value_kind:     global_buffer
      - .actual_access:  read_only
        .address_space:  global
        .offset:         32
        .size:           8
        .value_kind:     global_buffer
      - .offset:         40
        .size:           8
        .value_kind:     by_value
      - .actual_access:  read_only
        .address_space:  global
        .offset:         48
        .size:           8
        .value_kind:     global_buffer
      - .actual_access:  read_only
        .address_space:  global
        .offset:         56
        .size:           8
        .value_kind:     global_buffer
      - .offset:         64
        .size:           4
        .value_kind:     by_value
      - .actual_access:  read_only
        .address_space:  global
        .offset:         72
        .size:           8
        .value_kind:     global_buffer
      - .actual_access:  read_only
        .address_space:  global
        .offset:         80
        .size:           8
        .value_kind:     global_buffer
      - .actual_access:  read_only
        .address_space:  global
        .offset:         88
        .size:           8
        .value_kind:     global_buffer
      - .actual_access:  write_only
        .address_space:  global
        .offset:         96
        .size:           8
        .value_kind:     global_buffer
    .group_segment_fixed_size: 0
    .kernarg_segment_align: 8
    .kernarg_segment_size: 104
    .language:       OpenCL C
    .language_version:
      - 2
      - 0
    .max_flat_workgroup_size: 64
    .name:           fft_rtc_back_len416_factors_13_2_16_wgs_64_tpt_32_dp_op_CI_CI_unitstride_sbrr_C2R_dirReg
    .private_segment_fixed_size: 0
    .sgpr_count:     50
    .sgpr_spill_count: 0
    .symbol:         fft_rtc_back_len416_factors_13_2_16_wgs_64_tpt_32_dp_op_CI_CI_unitstride_sbrr_C2R_dirReg.kd
    .uniform_work_group_size: 1
    .uses_dynamic_stack: false
    .vgpr_count:     126
    .vgpr_spill_count: 0
    .wavefront_size: 64
amdhsa.target:   amdgcn-amd-amdhsa--gfx906
amdhsa.version:
  - 1
  - 2
...

	.end_amdgpu_metadata
